;; amdgpu-corpus repo=LLNL/RAJAPerf kind=compiled arch=gfx90a opt=O3
	.text
	.amdgcn_target "amdgcn-amd-amdhsa--gfx90a"
	.amdhsa_code_object_version 6
	.protected	_Z13matMultKerneliPdS_S_ ; -- Begin function _Z13matMultKerneliPdS_S_
	.globl	_Z13matMultKerneliPdS_S_
	.p2align	8
	.type	_Z13matMultKerneliPdS_S_,@function
_Z13matMultKerneliPdS_S_:               ; @_Z13matMultKerneliPdS_S_
; %bb.0:
	s_load_dword s0, s[4:5], 0x2c
	s_load_dword s8, s[4:5], 0x0
	v_bfe_u32 v1, v0, 10, 10
	v_and_b32_e32 v0, 0x3ff, v0
	s_waitcnt lgkmcnt(0)
	s_lshr_b32 s1, s0, 16
	s_and_b32 s0, s0, 0xffff
	s_mul_i32 s7, s7, s1
	s_mul_i32 s6, s6, s0
	v_add_u32_e32 v1, s7, v1
	v_add_u32_e32 v8, s6, v0
	v_max_i32_e32 v0, v1, v8
	v_cmp_gt_i32_e32 vcc, s8, v0
	s_and_saveexec_b64 s[0:1], vcc
	s_cbranch_execz .LBB0_6
; %bb.1:
	s_load_dwordx4 s[0:3], s[4:5], 0x8
	s_load_dwordx2 s[6:7], s[4:5], 0x18
	s_cmp_lt_i32 s8, 1
	v_mul_lo_u32 v0, v1, s8
	s_cbranch_scc1 .LBB0_4
; %bb.2:
	v_ashrrev_i32_e32 v1, 31, v0
	v_lshlrev_b64 v[2:3], 3, v[0:1]
	s_waitcnt lgkmcnt(0)
	v_mov_b32_e32 v1, s3
	v_add_co_u32_e32 v4, vcc, s2, v2
	v_addc_co_u32_e32 v5, vcc, v1, v3, vcc
	v_pk_mov_b32 v[2:3], 0, 0
	v_mov_b32_e32 v1, s7
	v_mov_b32_e32 v6, v8
	s_mov_b32 s2, s8
.LBB0_3:                                ; =>This Inner Loop Header: Depth=1
	v_ashrrev_i32_e32 v7, 31, v6
	v_lshlrev_b64 v[12:13], 3, v[6:7]
	v_add_co_u32_e32 v12, vcc, s6, v12
	v_addc_co_u32_e32 v13, vcc, v1, v13, vcc
	global_load_dwordx2 v[10:11], v[4:5], off
	s_add_i32 s2, s2, -1
	global_load_dwordx2 v[12:13], v[12:13], off
	v_add_co_u32_e32 v4, vcc, 8, v4
	v_addc_co_u32_e32 v5, vcc, 0, v5, vcc
	v_add_u32_e32 v6, s8, v6
	s_cmp_eq_u32 s2, 0
	s_waitcnt vmcnt(0)
	v_fmac_f64_e32 v[2:3], v[10:11], v[12:13]
	s_cbranch_scc0 .LBB0_3
	s_branch .LBB0_5
.LBB0_4:
	v_pk_mov_b32 v[2:3], 0, 0
.LBB0_5:
	v_add_u32_e32 v0, v8, v0
	v_ashrrev_i32_e32 v1, 31, v0
	v_lshlrev_b64 v[0:1], 3, v[0:1]
	s_waitcnt lgkmcnt(0)
	v_mov_b32_e32 v4, s1
	v_add_co_u32_e32 v0, vcc, s0, v0
	v_addc_co_u32_e32 v1, vcc, v4, v1, vcc
	global_store_dwordx2 v[0:1], v[2:3], off
.LBB0_6:
	s_endpgm
	.section	.rodata,"a",@progbits
	.p2align	6, 0x0
	.amdhsa_kernel _Z13matMultKerneliPdS_S_
		.amdhsa_group_segment_fixed_size 0
		.amdhsa_private_segment_fixed_size 0
		.amdhsa_kernarg_size 288
		.amdhsa_user_sgpr_count 6
		.amdhsa_user_sgpr_private_segment_buffer 1
		.amdhsa_user_sgpr_dispatch_ptr 0
		.amdhsa_user_sgpr_queue_ptr 0
		.amdhsa_user_sgpr_kernarg_segment_ptr 1
		.amdhsa_user_sgpr_dispatch_id 0
		.amdhsa_user_sgpr_flat_scratch_init 0
		.amdhsa_user_sgpr_kernarg_preload_length 0
		.amdhsa_user_sgpr_kernarg_preload_offset 0
		.amdhsa_user_sgpr_private_segment_size 0
		.amdhsa_uses_dynamic_stack 0
		.amdhsa_system_sgpr_private_segment_wavefront_offset 0
		.amdhsa_system_sgpr_workgroup_id_x 1
		.amdhsa_system_sgpr_workgroup_id_y 1
		.amdhsa_system_sgpr_workgroup_id_z 0
		.amdhsa_system_sgpr_workgroup_info 0
		.amdhsa_system_vgpr_workitem_id 1
		.amdhsa_next_free_vgpr 14
		.amdhsa_next_free_sgpr 9
		.amdhsa_accum_offset 16
		.amdhsa_reserve_vcc 1
		.amdhsa_reserve_flat_scratch 0
		.amdhsa_float_round_mode_32 0
		.amdhsa_float_round_mode_16_64 0
		.amdhsa_float_denorm_mode_32 3
		.amdhsa_float_denorm_mode_16_64 3
		.amdhsa_dx10_clamp 1
		.amdhsa_ieee_mode 1
		.amdhsa_fp16_overflow 0
		.amdhsa_tg_split 0
		.amdhsa_exception_fp_ieee_invalid_op 0
		.amdhsa_exception_fp_denorm_src 0
		.amdhsa_exception_fp_ieee_div_zero 0
		.amdhsa_exception_fp_ieee_overflow 0
		.amdhsa_exception_fp_ieee_underflow 0
		.amdhsa_exception_fp_ieee_inexact 0
		.amdhsa_exception_int_div_zero 0
	.end_amdhsa_kernel
	.text
.Lfunc_end0:
	.size	_Z13matMultKerneliPdS_S_, .Lfunc_end0-_Z13matMultKerneliPdS_S_
                                        ; -- End function
	.section	.AMDGPU.csdata,"",@progbits
; Kernel info:
; codeLenInByte = 284
; NumSgprs: 13
; NumVgprs: 14
; NumAgprs: 0
; TotalNumVgprs: 14
; ScratchSize: 0
; MemoryBound: 0
; FloatMode: 240
; IeeeMode: 1
; LDSByteSize: 0 bytes/workgroup (compile time only)
; SGPRBlocks: 1
; VGPRBlocks: 1
; NumSGPRsForWavesPerEU: 13
; NumVGPRsForWavesPerEU: 14
; AccumOffset: 16
; Occupancy: 8
; WaveLimiterHint : 0
; COMPUTE_PGM_RSRC2:SCRATCH_EN: 0
; COMPUTE_PGM_RSRC2:USER_SGPR: 6
; COMPUTE_PGM_RSRC2:TRAP_HANDLER: 0
; COMPUTE_PGM_RSRC2:TGID_X_EN: 1
; COMPUTE_PGM_RSRC2:TGID_Y_EN: 1
; COMPUTE_PGM_RSRC2:TGID_Z_EN: 0
; COMPUTE_PGM_RSRC2:TIDIG_COMP_CNT: 1
; COMPUTE_PGM_RSRC3_GFX90A:ACCUM_OFFSET: 3
; COMPUTE_PGM_RSRC3_GFX90A:TG_SPLIT: 0
	.text
	.protected	_Z19sharedMatMultKerneliPdS_S_ ; -- Begin function _Z19sharedMatMultKerneliPdS_S_
	.globl	_Z19sharedMatMultKerneliPdS_S_
	.p2align	8
	.type	_Z19sharedMatMultKerneliPdS_S_,@function
_Z19sharedMatMultKerneliPdS_S_:         ; @_Z19sharedMatMultKerneliPdS_S_
; %bb.0:
	s_load_dword s16, s[4:5], 0x0
	s_load_dwordx4 s[8:11], s[4:5], 0x8
	s_load_dwordx2 s[12:13], s[4:5], 0x18
	v_and_b32_e32 v9, 0x3ff, v0
	v_bfe_u32 v8, v0, 10, 10
	v_lshlrev_b32_e32 v2, 3, v9
	s_lshl_b32 s2, s6, 4
	v_lshl_add_u32 v3, v8, 7, v2
	v_mov_b32_e32 v1, 0
	v_lshl_add_u32 v11, s7, 4, v8
	v_add_u32_e32 v12, s2, v9
	v_add_u32_e32 v10, 0x1000, v3
	v_mov_b32_e32 v0, v1
	s_waitcnt lgkmcnt(0)
	s_cmp_lt_i32 s16, 1
	ds_write_b64 v3, v[0:1] offset:4096
	s_cbranch_scc1 .LBB1_7
; %bb.1:
	s_add_i32 s0, s16, 15
	v_lshlrev_b32_e32 v13, 7, v8
	v_add_u32_e32 v16, 0x800, v2
	v_mul_lo_u32 v0, v8, s16
	s_lshr_b32 s17, s0, 4
	v_cmp_gt_i32_e32 vcc, s16, v11
	v_add_u32_e32 v14, v13, v2
	v_mul_lo_u32 v15, v11, s16
	v_cmp_gt_i32_e64 s[0:1], s16, v12
	v_add_u32_e32 v17, v16, v13
	v_add3_u32 v2, v9, v0, s2
	s_lshl_b32 s18, s16, 4
	v_mov_b32_e32 v18, v8
	v_mov_b32_e32 v19, v9
	s_branch .LBB1_3
.LBB1_2:                                ;   in Loop: Header=BB1_3 Depth=1
	s_or_b64 exec, exec, s[14:15]
	s_waitcnt vmcnt(0)
	ds_write_b64 v17, v[4:5]
	s_waitcnt lgkmcnt(0)
	s_barrier
	ds_read_b64 v[40:41], v10
	ds_read_b128 v[4:7], v13
	ds_read2_b64 v[20:23], v16 offset1:16
	ds_read2_b64 v[24:27], v16 offset0:32 offset1:48
	ds_read_b128 v[28:31], v13 offset:16
	ds_read_b128 v[32:35], v13 offset:32
	s_add_i32 s17, s17, -1
	s_waitcnt lgkmcnt(3)
	v_fmac_f64_e32 v[40:41], v[4:5], v[20:21]
	v_fmac_f64_e32 v[40:41], v[6:7], v[22:23]
	s_waitcnt lgkmcnt(1)
	v_fmac_f64_e32 v[40:41], v[28:29], v[24:25]
	v_fmac_f64_e32 v[40:41], v[30:31], v[26:27]
	ds_read2_b64 v[4:7], v16 offset0:64 offset1:80
	ds_read2_b64 v[20:23], v16 offset0:96 offset1:112
	ds_read_b128 v[24:27], v13 offset:48
	ds_read_b128 v[28:31], v13 offset:64
	ds_read2_b64 v[36:39], v16 offset0:128 offset1:144
	s_waitcnt lgkmcnt(4)
	v_fmac_f64_e32 v[40:41], v[32:33], v[4:5]
	v_fmac_f64_e32 v[40:41], v[34:35], v[6:7]
	s_waitcnt lgkmcnt(2)
	v_fmac_f64_e32 v[40:41], v[24:25], v[20:21]
	v_fmac_f64_e32 v[40:41], v[26:27], v[22:23]
	;; [unrolled: 3-line block ×3, first 2 shown]
	ds_read2_b64 v[4:7], v16 offset0:160 offset1:176
	ds_read_b128 v[20:23], v13 offset:80
	ds_read_b128 v[24:27], v13 offset:96
	ds_read2_b64 v[28:31], v16 offset0:192 offset1:208
	ds_read_b128 v[32:35], v13 offset:112
	ds_read2_b64 v[36:39], v16 offset0:224 offset1:240
	s_waitcnt lgkmcnt(4)
	v_fmac_f64_e32 v[40:41], v[20:21], v[4:5]
	v_fmac_f64_e32 v[40:41], v[22:23], v[6:7]
	s_waitcnt lgkmcnt(2)
	v_fmac_f64_e32 v[40:41], v[24:25], v[28:29]
	v_fmac_f64_e32 v[40:41], v[26:27], v[30:31]
	;; [unrolled: 3-line block ×3, first 2 shown]
	v_add_u32_e32 v19, 16, v19
	v_add_u32_e32 v2, s18, v2
	s_cmp_eq_u32 s17, 0
	v_add_u32_e32 v18, 16, v18
	ds_write_b64 v10, v[40:41]
	s_waitcnt lgkmcnt(0)
	s_barrier
	s_cbranch_scc1 .LBB1_7
.LBB1_3:                                ; =>This Inner Loop Header: Depth=1
	v_cmp_gt_i32_e64 s[2:3], s16, v19
	v_pk_mov_b32 v[4:5], 0, 0
	s_and_b64 s[2:3], vcc, s[2:3]
	v_pk_mov_b32 v[6:7], v[4:5], v[4:5] op_sel:[0,1]
	s_and_saveexec_b64 s[14:15], s[2:3]
	s_cbranch_execz .LBB1_5
; %bb.4:                                ;   in Loop: Header=BB1_3 Depth=1
	v_add_u32_e32 v0, v15, v19
	v_lshlrev_b64 v[6:7], 3, v[0:1]
	v_mov_b32_e32 v0, s11
	v_add_co_u32_e64 v6, s[2:3], s10, v6
	v_addc_co_u32_e64 v7, s[2:3], v0, v7, s[2:3]
	global_load_dwordx2 v[6:7], v[6:7], off
.LBB1_5:                                ;   in Loop: Header=BB1_3 Depth=1
	s_or_b64 exec, exec, s[14:15]
	v_cmp_gt_i32_e64 s[2:3], s16, v18
	s_and_b64 s[2:3], s[0:1], s[2:3]
	s_waitcnt vmcnt(0)
	ds_write_b64 v14, v[6:7]
	s_and_saveexec_b64 s[14:15], s[2:3]
	s_cbranch_execz .LBB1_2
; %bb.6:                                ;   in Loop: Header=BB1_3 Depth=1
	v_mov_b32_e32 v3, v1
	v_lshlrev_b64 v[4:5], 3, v[2:3]
	v_mov_b32_e32 v0, s13
	v_add_co_u32_e64 v4, s[2:3], s12, v4
	v_addc_co_u32_e64 v5, s[2:3], v0, v5, s[2:3]
	global_load_dwordx2 v[4:5], v[4:5], off
	s_branch .LBB1_2
.LBB1_7:
	v_max_i32_e32 v0, v11, v12
	v_cmp_gt_i32_e32 vcc, s16, v0
	s_and_saveexec_b64 s[0:1], vcc
	s_cbranch_execz .LBB1_9
; %bb.8:
	s_load_dword s0, s[4:5], 0x2c
	ds_read_b64 v[0:1], v10
	v_mov_b32_e32 v3, 0
	v_mov_b32_e32 v4, s9
	s_waitcnt lgkmcnt(0)
	s_lshr_b32 s1, s0, 16
	s_mul_i32 s7, s7, s1
	s_and_b32 s0, s0, 0xffff
	v_add_u32_e32 v2, s7, v8
	s_mul_i32 s6, s6, s0
	v_mul_lo_u32 v2, v2, s16
	v_add3_u32 v2, s6, v9, v2
	v_lshlrev_b64 v[2:3], 3, v[2:3]
	v_add_co_u32_e32 v2, vcc, s8, v2
	v_addc_co_u32_e32 v3, vcc, v4, v3, vcc
	global_store_dwordx2 v[2:3], v[0:1], off
.LBB1_9:
	s_endpgm
	.section	.rodata,"a",@progbits
	.p2align	6, 0x0
	.amdhsa_kernel _Z19sharedMatMultKerneliPdS_S_
		.amdhsa_group_segment_fixed_size 6144
		.amdhsa_private_segment_fixed_size 0
		.amdhsa_kernarg_size 288
		.amdhsa_user_sgpr_count 6
		.amdhsa_user_sgpr_private_segment_buffer 1
		.amdhsa_user_sgpr_dispatch_ptr 0
		.amdhsa_user_sgpr_queue_ptr 0
		.amdhsa_user_sgpr_kernarg_segment_ptr 1
		.amdhsa_user_sgpr_dispatch_id 0
		.amdhsa_user_sgpr_flat_scratch_init 0
		.amdhsa_user_sgpr_kernarg_preload_length 0
		.amdhsa_user_sgpr_kernarg_preload_offset 0
		.amdhsa_user_sgpr_private_segment_size 0
		.amdhsa_uses_dynamic_stack 0
		.amdhsa_system_sgpr_private_segment_wavefront_offset 0
		.amdhsa_system_sgpr_workgroup_id_x 1
		.amdhsa_system_sgpr_workgroup_id_y 1
		.amdhsa_system_sgpr_workgroup_id_z 0
		.amdhsa_system_sgpr_workgroup_info 0
		.amdhsa_system_vgpr_workitem_id 1
		.amdhsa_next_free_vgpr 42
		.amdhsa_next_free_sgpr 19
		.amdhsa_accum_offset 44
		.amdhsa_reserve_vcc 1
		.amdhsa_reserve_flat_scratch 0
		.amdhsa_float_round_mode_32 0
		.amdhsa_float_round_mode_16_64 0
		.amdhsa_float_denorm_mode_32 3
		.amdhsa_float_denorm_mode_16_64 3
		.amdhsa_dx10_clamp 1
		.amdhsa_ieee_mode 1
		.amdhsa_fp16_overflow 0
		.amdhsa_tg_split 0
		.amdhsa_exception_fp_ieee_invalid_op 0
		.amdhsa_exception_fp_denorm_src 0
		.amdhsa_exception_fp_ieee_div_zero 0
		.amdhsa_exception_fp_ieee_overflow 0
		.amdhsa_exception_fp_ieee_underflow 0
		.amdhsa_exception_fp_ieee_inexact 0
		.amdhsa_exception_int_div_zero 0
	.end_amdhsa_kernel
	.text
.Lfunc_end1:
	.size	_Z19sharedMatMultKerneliPdS_S_, .Lfunc_end1-_Z19sharedMatMultKerneliPdS_S_
                                        ; -- End function
	.section	.AMDGPU.csdata,"",@progbits
; Kernel info:
; codeLenInByte = 748
; NumSgprs: 23
; NumVgprs: 42
; NumAgprs: 0
; TotalNumVgprs: 42
; ScratchSize: 0
; MemoryBound: 0
; FloatMode: 240
; IeeeMode: 1
; LDSByteSize: 6144 bytes/workgroup (compile time only)
; SGPRBlocks: 2
; VGPRBlocks: 5
; NumSGPRsForWavesPerEU: 23
; NumVGPRsForWavesPerEU: 42
; AccumOffset: 44
; Occupancy: 8
; WaveLimiterHint : 0
; COMPUTE_PGM_RSRC2:SCRATCH_EN: 0
; COMPUTE_PGM_RSRC2:USER_SGPR: 6
; COMPUTE_PGM_RSRC2:TRAP_HANDLER: 0
; COMPUTE_PGM_RSRC2:TGID_X_EN: 1
; COMPUTE_PGM_RSRC2:TGID_Y_EN: 1
; COMPUTE_PGM_RSRC2:TGID_Z_EN: 0
; COMPUTE_PGM_RSRC2:TIDIG_COMP_CNT: 1
; COMPUTE_PGM_RSRC3_GFX90A:ACCUM_OFFSET: 10
; COMPUTE_PGM_RSRC3_GFX90A:TG_SPLIT: 0
	.section	.text._ZN4RAJA28launch_new_reduce_global_fcnIZ4mainEUlNS_14LaunchContextTINS_3hip33LaunchContextIndicesAndDimsPolicyINS2_14IndicesAndDimsILb0ELb0ELb0ELb0EEEEEEEE_NS_4expt15ForallParamPackIJEEEEEvT_T0_,"axG",@progbits,_ZN4RAJA28launch_new_reduce_global_fcnIZ4mainEUlNS_14LaunchContextTINS_3hip33LaunchContextIndicesAndDimsPolicyINS2_14IndicesAndDimsILb0ELb0ELb0ELb0EEEEEEEE_NS_4expt15ForallParamPackIJEEEEEvT_T0_,comdat
	.globl	_ZN4RAJA28launch_new_reduce_global_fcnIZ4mainEUlNS_14LaunchContextTINS_3hip33LaunchContextIndicesAndDimsPolicyINS2_14IndicesAndDimsILb0ELb0ELb0ELb0EEEEEEEE_NS_4expt15ForallParamPackIJEEEEEvT_T0_ ; -- Begin function _ZN4RAJA28launch_new_reduce_global_fcnIZ4mainEUlNS_14LaunchContextTINS_3hip33LaunchContextIndicesAndDimsPolicyINS2_14IndicesAndDimsILb0ELb0ELb0ELb0EEEEEEEE_NS_4expt15ForallParamPackIJEEEEEvT_T0_
	.p2align	8
	.type	_ZN4RAJA28launch_new_reduce_global_fcnIZ4mainEUlNS_14LaunchContextTINS_3hip33LaunchContextIndicesAndDimsPolicyINS2_14IndicesAndDimsILb0ELb0ELb0ELb0EEEEEEEE_NS_4expt15ForallParamPackIJEEEEEvT_T0_,@function
_ZN4RAJA28launch_new_reduce_global_fcnIZ4mainEUlNS_14LaunchContextTINS_3hip33LaunchContextIndicesAndDimsPolicyINS2_14IndicesAndDimsILb0ELb0ELb0ELb0EEEEEEEE_NS_4expt15ForallParamPackIJEEEEEvT_T0_: ; @_ZN4RAJA28launch_new_reduce_global_fcnIZ4mainEUlNS_14LaunchContextTINS_3hip33LaunchContextIndicesAndDimsPolicyINS2_14IndicesAndDimsILb0ELb0ELb0ELb0EEEEEEEE_NS_4expt15ForallParamPackIJEEEEEvT_T0_
; %bb.0:
	s_load_dwordx4 s[8:11], s[4:5], 0x0
	s_load_dword s12, s[4:5], 0x10c
	v_bfe_u32 v4, v0, 10, 10
	v_mov_b32_e32 v5, 0
	v_mov_b32_e32 v1, s7
	s_waitcnt lgkmcnt(0)
	s_sub_u32 s2, s10, s8
	s_subb_u32 s3, s11, s9
	s_add_u32 s0, s4, 0x100
	s_addc_u32 s1, s5, 0
	s_lshr_b32 s9, s12, 16
	v_mad_u64_u32 v[2:3], s[10:11], s9, v1, v[4:5]
	v_cmp_gt_i64_e32 vcc, s[2:3], v[2:3]
	s_and_saveexec_b64 s[2:3], vcc
	s_cbranch_execz .LBB2_5
; %bb.1:
	s_load_dwordx4 s[20:23], s[4:5], 0x10
	s_load_dword s2, s[0:1], 0xc
	v_and_b32_e32 v4, 0x3ff, v0
	v_mov_b32_e32 v0, s6
	s_waitcnt lgkmcnt(0)
	s_sub_u32 s0, s22, s20
	s_subb_u32 s1, s23, s21
	s_and_b32 s2, s2, 0xffff
	v_mad_u64_u32 v[4:5], s[2:3], s2, v0, v[4:5]
	v_cmp_gt_i64_e32 vcc, s[0:1], v[4:5]
	s_and_b64 exec, exec, vcc
	s_cbranch_execz .LBB2_5
; %bb.2:
	v_add_u32_e32 v0, s8, v2
	v_add_u32_e32 v2, s20, v4
	s_load_dwordx2 s[10:11], s[4:5], 0x20
	s_load_dwordx4 s[12:15], s[4:5], 0x38
	s_load_dwordx2 s[22:23], s[4:5], 0x68
	s_load_dwordx4 s[16:19], s[4:5], 0x80
	;; [unrolled: 2-line block ×3, first 2 shown]
	v_ashrrev_i32_e32 v1, 31, v2
	s_waitcnt lgkmcnt(0)
	v_mul_lo_u32 v3, v1, s12
	v_mul_lo_u32 v6, v2, s13
	v_mad_u64_u32 v[4:5], s[4:5], v2, s12, 0
	v_add3_u32 v5, v5, v6, v3
	v_lshlrev_b64 v[4:5], 3, v[4:5]
	v_mov_b32_e32 v3, s11
	v_add_co_u32_e32 v4, vcc, s10, v4
	v_addc_co_u32_e32 v5, vcc, v3, v5, vcc
	v_ashrrev_i32_e32 v3, 31, v0
	v_mul_lo_u32 v8, v3, s18
	v_mul_lo_u32 v9, v0, s19
	v_mad_u64_u32 v[6:7], s[4:5], v0, s18, 0
	v_add3_u32 v7, v7, v9, v8
	v_lshlrev_b64 v[6:7], 3, v[6:7]
	s_mul_i32 s4, s17, 24
	s_mul_hi_u32 s5, s16, 24
	s_mul_i32 s8, s15, 24
	s_mul_hi_u32 s9, s14, 24
	v_mov_b32_e32 v8, s23
	v_add_co_u32_e32 v6, vcc, s22, v6
	s_add_i32 s21, s5, s4
	s_mul_i32 s18, s16, 24
	s_lshl_b64 s[4:5], s[16:17], 5
	s_add_i32 s22, s9, s8
	s_mul_i32 s19, s14, 24
	s_lshl_b64 s[8:9], s[14:15], 5
	s_lshl_b64 s[10:11], s[16:17], 4
	;; [unrolled: 1-line block ×5, first 2 shown]
	v_addc_co_u32_e32 v7, vcc, v8, v7, vcc
	s_movk_i32 s20, 0x3e8
	v_pk_mov_b32 v[8:9], 0, 0
	v_mov_b32_e32 v10, s15
	v_mov_b32_e32 v11, s17
	;; [unrolled: 1-line block ×8, first 2 shown]
.LBB2_3:                                ; =>This Inner Loop Header: Depth=1
	v_add_co_u32_e32 v22, vcc, s14, v4
	v_addc_co_u32_e32 v23, vcc, v5, v10, vcc
	v_add_co_u32_e32 v24, vcc, s16, v6
	v_addc_co_u32_e32 v25, vcc, v7, v11, vcc
	;; [unrolled: 2-line block ×4, first 2 shown]
	global_load_dwordx2 v[18:19], v[4:5], off
	global_load_dwordx2 v[20:21], v[6:7], off
	v_add_co_u32_e32 v30, vcc, s19, v4
	v_addc_co_u32_e32 v31, vcc, v5, v14, vcc
	v_add_co_u32_e32 v32, vcc, s18, v6
	v_addc_co_u32_e32 v33, vcc, v7, v15, vcc
	global_load_dwordx2 v[34:35], v[22:23], off
	global_load_dwordx2 v[36:37], v[24:25], off
	;; [unrolled: 1-line block ×6, first 2 shown]
	v_add_co_u32_e32 v6, vcc, s4, v6
	v_addc_co_u32_e32 v7, vcc, v7, v16, vcc
	v_add_co_u32_e32 v4, vcc, s8, v4
	s_add_i32 s20, s20, -4
	v_addc_co_u32_e32 v5, vcc, v5, v17, vcc
	s_cmp_lg_u32 s20, 0
	s_waitcnt vmcnt(6)
	v_fmac_f64_e32 v[8:9], v[18:19], v[20:21]
	s_waitcnt vmcnt(4)
	v_fmac_f64_e32 v[8:9], v[34:35], v[36:37]
	s_waitcnt vmcnt(2)
	v_fmac_f64_e32 v[8:9], v[38:39], v[40:41]
	s_waitcnt vmcnt(0)
	v_fmac_f64_e32 v[8:9], v[42:43], v[44:45]
	s_cbranch_scc1 .LBB2_3
; %bb.4:
	v_mul_lo_u32 v1, v1, s0
	v_mul_lo_u32 v6, v2, s1
	v_mad_u64_u32 v[4:5], s[0:1], v2, s0, 0
	v_add3_u32 v5, v5, v6, v1
	v_mul_lo_u32 v2, v3, s2
	v_mul_lo_u32 v3, v0, s3
	v_mad_u64_u32 v[0:1], s[0:1], v0, s2, 0
	v_add3_u32 v1, v1, v3, v2
	v_lshlrev_b64 v[0:1], 3, v[0:1]
	v_mov_b32_e32 v2, s7
	v_add_co_u32_e32 v3, vcc, s6, v0
	v_addc_co_u32_e32 v2, vcc, v2, v1, vcc
	v_lshlrev_b64 v[0:1], 3, v[4:5]
	v_add_co_u32_e32 v0, vcc, v3, v0
	v_addc_co_u32_e32 v1, vcc, v2, v1, vcc
	global_store_dwordx2 v[0:1], v[8:9], off
.LBB2_5:
	s_endpgm
	.section	.rodata,"a",@progbits
	.p2align	6, 0x0
	.amdhsa_kernel _ZN4RAJA28launch_new_reduce_global_fcnIZ4mainEUlNS_14LaunchContextTINS_3hip33LaunchContextIndicesAndDimsPolicyINS2_14IndicesAndDimsILb0ELb0ELb0ELb0EEEEEEEE_NS_4expt15ForallParamPackIJEEEEEvT_T0_
		.amdhsa_group_segment_fixed_size 0
		.amdhsa_private_segment_fixed_size 0
		.amdhsa_kernarg_size 512
		.amdhsa_user_sgpr_count 6
		.amdhsa_user_sgpr_private_segment_buffer 1
		.amdhsa_user_sgpr_dispatch_ptr 0
		.amdhsa_user_sgpr_queue_ptr 0
		.amdhsa_user_sgpr_kernarg_segment_ptr 1
		.amdhsa_user_sgpr_dispatch_id 0
		.amdhsa_user_sgpr_flat_scratch_init 0
		.amdhsa_user_sgpr_kernarg_preload_length 0
		.amdhsa_user_sgpr_kernarg_preload_offset 0
		.amdhsa_user_sgpr_private_segment_size 0
		.amdhsa_uses_dynamic_stack 0
		.amdhsa_system_sgpr_private_segment_wavefront_offset 0
		.amdhsa_system_sgpr_workgroup_id_x 1
		.amdhsa_system_sgpr_workgroup_id_y 1
		.amdhsa_system_sgpr_workgroup_id_z 0
		.amdhsa_system_sgpr_workgroup_info 0
		.amdhsa_system_vgpr_workitem_id 1
		.amdhsa_next_free_vgpr 46
		.amdhsa_next_free_sgpr 24
		.amdhsa_accum_offset 48
		.amdhsa_reserve_vcc 1
		.amdhsa_reserve_flat_scratch 0
		.amdhsa_float_round_mode_32 0
		.amdhsa_float_round_mode_16_64 0
		.amdhsa_float_denorm_mode_32 3
		.amdhsa_float_denorm_mode_16_64 3
		.amdhsa_dx10_clamp 1
		.amdhsa_ieee_mode 1
		.amdhsa_fp16_overflow 0
		.amdhsa_tg_split 0
		.amdhsa_exception_fp_ieee_invalid_op 0
		.amdhsa_exception_fp_denorm_src 0
		.amdhsa_exception_fp_ieee_div_zero 0
		.amdhsa_exception_fp_ieee_overflow 0
		.amdhsa_exception_fp_ieee_underflow 0
		.amdhsa_exception_fp_ieee_inexact 0
		.amdhsa_exception_int_div_zero 0
	.end_amdhsa_kernel
	.section	.text._ZN4RAJA28launch_new_reduce_global_fcnIZ4mainEUlNS_14LaunchContextTINS_3hip33LaunchContextIndicesAndDimsPolicyINS2_14IndicesAndDimsILb0ELb0ELb0ELb0EEEEEEEE_NS_4expt15ForallParamPackIJEEEEEvT_T0_,"axG",@progbits,_ZN4RAJA28launch_new_reduce_global_fcnIZ4mainEUlNS_14LaunchContextTINS_3hip33LaunchContextIndicesAndDimsPolicyINS2_14IndicesAndDimsILb0ELb0ELb0ELb0EEEEEEEE_NS_4expt15ForallParamPackIJEEEEEvT_T0_,comdat
.Lfunc_end2:
	.size	_ZN4RAJA28launch_new_reduce_global_fcnIZ4mainEUlNS_14LaunchContextTINS_3hip33LaunchContextIndicesAndDimsPolicyINS2_14IndicesAndDimsILb0ELb0ELb0ELb0EEEEEEEE_NS_4expt15ForallParamPackIJEEEEEvT_T0_, .Lfunc_end2-_ZN4RAJA28launch_new_reduce_global_fcnIZ4mainEUlNS_14LaunchContextTINS_3hip33LaunchContextIndicesAndDimsPolicyINS2_14IndicesAndDimsILb0ELb0ELb0ELb0EEEEEEEE_NS_4expt15ForallParamPackIJEEEEEvT_T0_
                                        ; -- End function
	.section	.AMDGPU.csdata,"",@progbits
; Kernel info:
; codeLenInByte = 704
; NumSgprs: 28
; NumVgprs: 46
; NumAgprs: 0
; TotalNumVgprs: 46
; ScratchSize: 0
; MemoryBound: 1
; FloatMode: 240
; IeeeMode: 1
; LDSByteSize: 0 bytes/workgroup (compile time only)
; SGPRBlocks: 3
; VGPRBlocks: 5
; NumSGPRsForWavesPerEU: 28
; NumVGPRsForWavesPerEU: 46
; AccumOffset: 48
; Occupancy: 8
; WaveLimiterHint : 0
; COMPUTE_PGM_RSRC2:SCRATCH_EN: 0
; COMPUTE_PGM_RSRC2:USER_SGPR: 6
; COMPUTE_PGM_RSRC2:TRAP_HANDLER: 0
; COMPUTE_PGM_RSRC2:TGID_X_EN: 1
; COMPUTE_PGM_RSRC2:TGID_Y_EN: 1
; COMPUTE_PGM_RSRC2:TGID_Z_EN: 0
; COMPUTE_PGM_RSRC2:TIDIG_COMP_CNT: 1
; COMPUTE_PGM_RSRC3_GFX90A:ACCUM_OFFSET: 11
; COMPUTE_PGM_RSRC3_GFX90A:TG_SPLIT: 0
	.section	.text._ZN4RAJA28launch_new_reduce_global_fcnIZ4mainEUlNS_14LaunchContextTINS_3hip33LaunchContextIndicesAndDimsPolicyINS2_14IndicesAndDimsILb0ELb0ELb0ELb0EEEEEEEE0_NS_4expt15ForallParamPackIJEEEEEvT_T0_,"axG",@progbits,_ZN4RAJA28launch_new_reduce_global_fcnIZ4mainEUlNS_14LaunchContextTINS_3hip33LaunchContextIndicesAndDimsPolicyINS2_14IndicesAndDimsILb0ELb0ELb0ELb0EEEEEEEE0_NS_4expt15ForallParamPackIJEEEEEvT_T0_,comdat
	.globl	_ZN4RAJA28launch_new_reduce_global_fcnIZ4mainEUlNS_14LaunchContextTINS_3hip33LaunchContextIndicesAndDimsPolicyINS2_14IndicesAndDimsILb0ELb0ELb0ELb0EEEEEEEE0_NS_4expt15ForallParamPackIJEEEEEvT_T0_ ; -- Begin function _ZN4RAJA28launch_new_reduce_global_fcnIZ4mainEUlNS_14LaunchContextTINS_3hip33LaunchContextIndicesAndDimsPolicyINS2_14IndicesAndDimsILb0ELb0ELb0ELb0EEEEEEEE0_NS_4expt15ForallParamPackIJEEEEEvT_T0_
	.p2align	8
	.type	_ZN4RAJA28launch_new_reduce_global_fcnIZ4mainEUlNS_14LaunchContextTINS_3hip33LaunchContextIndicesAndDimsPolicyINS2_14IndicesAndDimsILb0ELb0ELb0ELb0EEEEEEEE0_NS_4expt15ForallParamPackIJEEEEEvT_T0_,@function
_ZN4RAJA28launch_new_reduce_global_fcnIZ4mainEUlNS_14LaunchContextTINS_3hip33LaunchContextIndicesAndDimsPolicyINS2_14IndicesAndDimsILb0ELb0ELb0ELb0EEEEEEEE0_NS_4expt15ForallParamPackIJEEEEEvT_T0_: ; @_ZN4RAJA28launch_new_reduce_global_fcnIZ4mainEUlNS_14LaunchContextTINS_3hip33LaunchContextIndicesAndDimsPolicyINS2_14IndicesAndDimsILb0ELb0ELb0ELb0EEEEEEEE0_NS_4expt15ForallParamPackIJEEEEEvT_T0_
; %bb.0:
	s_load_dwordx4 s[16:19], s[4:5], 0x0
	v_mov_b32_e32 v1, 0
	v_mov_b32_e32 v2, s6
	;; [unrolled: 1-line block ×3, first 2 shown]
	s_waitcnt lgkmcnt(0)
	s_sub_u32 s0, s18, s16
	s_subb_u32 s1, s19, s17
	v_cmp_le_i64_e32 vcc, s[0:1], v[2:3]
	s_cbranch_vccnz .LBB3_6
; %bb.1:
	s_load_dwordx4 s[0:3], s[4:5], 0x10
	s_waitcnt lgkmcnt(0)
	s_sub_u32 s2, s2, s0
	s_subb_u32 s3, s3, s1
	v_cmp_gt_i64_e32 vcc, s[2:3], v[0:1]
	s_and_saveexec_b64 s[8:9], vcc
	s_cbranch_execz .LBB3_6
; %bb.2:
	s_load_dwordx2 s[24:25], s[4:5], 0x20
	s_load_dwordx4 s[12:15], s[4:5], 0x38
	s_load_dword s1, s[4:5], 0x10c
	s_load_dwordx2 s[18:19], s[4:5], 0x68
	s_load_dwordx4 s[20:23], s[4:5], 0x80
	s_load_dwordx2 s[26:27], s[4:5], 0xb0
	s_load_dwordx4 s[8:11], s[4:5], 0xc8
	s_add_i32 s6, s6, s16
	s_ashr_i32 s7, s6, 31
	s_waitcnt lgkmcnt(0)
	s_mul_i32 s4, s22, s7
	s_mul_hi_u32 s5, s22, s6
	s_add_i32 s4, s5, s4
	s_mul_i32 s5, s23, s6
	s_add_i32 s5, s4, s5
	s_mul_i32 s4, s22, s6
	s_and_b32 s1, s1, 0xffff
	s_lshl_b64 s[4:5], s[4:5], 3
	s_add_u32 s4, s18, s4
	s_mul_i32 s7, s10, s7
	s_mul_hi_u32 s16, s10, s6
	s_addc_u32 s5, s19, s5
	s_add_i32 s7, s16, s7
	s_mul_i32 s11, s11, s6
	s_add_i32 s7, s7, s11
	s_mul_i32 s6, s10, s6
	s_lshl_b64 s[6:7], s[6:7], 3
	s_add_u32 s26, s26, s6
	s_mul_i32 s10, s15, 24
	s_mul_hi_u32 s11, s14, 24
	s_mov_b32 s30, 0
	s_addc_u32 s31, s27, s7
	s_mul_i32 s6, s21, 24
	s_mul_hi_u32 s7, s20, 24
	s_add_i32 s33, s11, s10
	s_mul_i32 s29, s14, 24
	s_lshl_b64 s[10:11], s[12:13], 3
	s_lshl_b64 s[12:13], s[14:15], 5
	;; [unrolled: 1-line block ×4, first 2 shown]
	s_add_i32 s27, s7, s6
	s_mul_i32 s28, s20, 24
	s_lshl_b64 s[6:7], s[20:21], 5
	v_add_u32_e32 v10, s0, v0
	s_lshl_b64 s[16:17], s[20:21], 4
	s_lshl_b64 s[20:21], s[20:21], 3
	s_mov_b64 s[22:23], 0
	v_pk_mov_b32 v[2:3], s[24:25], s[24:25] op_sel:[0,1]
	v_mov_b32_e32 v11, s15
	v_mov_b32_e32 v12, s19
	;; [unrolled: 1-line block ×6, first 2 shown]
	v_pk_mov_b32 v[4:5], v[0:1], v[0:1] op_sel:[0,1]
.LBB3_3:                                ; =>This Loop Header: Depth=1
                                        ;     Child Loop BB3_4 Depth 2
	v_ashrrev_i32_e32 v0, 31, v10
	v_mad_u64_u32 v[8:9], s[24:25], s10, v10, v[2:3]
	v_mul_lo_u32 v6, s11, v10
	v_mul_lo_u32 v0, s10, v0
	v_add3_u32 v9, v6, v9, v0
	s_movk_i32 s13, 0x3e8
	v_pk_mov_b32 v[6:7], 0, 0
	s_mov_b64 s[24:25], s[4:5]
.LBB3_4:                                ;   Parent Loop BB3_3 Depth=1
                                        ; =>  This Inner Loop Header: Depth=2
	v_add_co_u32_e32 v22, vcc, s14, v8
	v_addc_co_u32_e32 v23, vcc, v9, v11, vcc
	s_add_u32 s30, s24, s20
	v_add_co_u32_e32 v24, vcc, s18, v8
	s_addc_u32 s31, s25, s21
	v_addc_co_u32_e32 v25, vcc, v9, v12, vcc
	s_add_u32 s34, s24, s16
	global_load_dwordx2 v[18:19], v[8:9], off
	global_load_dwordx2 v[20:21], v1, s[24:25]
	v_add_co_u32_e32 v26, vcc, s29, v8
	s_addc_u32 s35, s25, s17
	v_addc_co_u32_e32 v27, vcc, v9, v13, vcc
	global_load_dwordx2 v[28:29], v[22:23], off
	global_load_dwordx2 v[30:31], v[24:25], off
	;; [unrolled: 1-line block ×3, first 2 shown]
	v_add_co_u32_e32 v8, vcc, s12, v8
	global_load_dwordx2 v[22:23], v1, s[30:31]
	global_load_dwordx2 v[24:25], v1, s[34:35]
	s_add_u32 s30, s24, s28
	s_addc_u32 s31, s25, s27
	global_load_dwordx2 v[26:27], v1, s[30:31]
	s_add_u32 s24, s24, s6
	s_addc_u32 s25, s25, s7
	s_add_i32 s13, s13, -4
	v_addc_co_u32_e32 v9, vcc, v9, v14, vcc
	s_cmp_lg_u32 s13, 0
	s_waitcnt vmcnt(6)
	v_fmac_f64_e32 v[6:7], v[18:19], v[20:21]
	s_waitcnt vmcnt(2)
	v_fmac_f64_e32 v[6:7], v[28:29], v[22:23]
	;; [unrolled: 2-line block ×4, first 2 shown]
	s_cbranch_scc1 .LBB3_4
; %bb.5:                                ;   in Loop: Header=BB3_3 Depth=1
	v_add_u32_e32 v0, s0, v4
	v_ashrrev_i32_e32 v8, 31, v0
	v_mul_lo_u32 v17, v8, s8
	v_mul_lo_u32 v18, v0, s9
	v_mad_u64_u32 v[8:9], s[24:25], v0, s8, 0
	v_add3_u32 v9, v9, v18, v17
	v_lshlrev_b64 v[8:9], 3, v[8:9]
	v_add_co_u32_e32 v8, vcc, s26, v8
	v_addc_co_u32_e32 v9, vcc, v15, v9, vcc
	v_add_co_u32_e32 v4, vcc, s1, v4
	v_addc_co_u32_e32 v5, vcc, v5, v16, vcc
	v_cmp_le_i64_e32 vcc, s[2:3], v[4:5]
	s_or_b64 s[22:23], vcc, s[22:23]
	v_add_u32_e32 v10, s1, v10
	global_store_dwordx2 v[8:9], v[6:7], off
	s_andn2_b64 exec, exec, s[22:23]
	s_cbranch_execnz .LBB3_3
.LBB3_6:
	s_endpgm
	.section	.rodata,"a",@progbits
	.p2align	6, 0x0
	.amdhsa_kernel _ZN4RAJA28launch_new_reduce_global_fcnIZ4mainEUlNS_14LaunchContextTINS_3hip33LaunchContextIndicesAndDimsPolicyINS2_14IndicesAndDimsILb0ELb0ELb0ELb0EEEEEEEE0_NS_4expt15ForallParamPackIJEEEEEvT_T0_
		.amdhsa_group_segment_fixed_size 0
		.amdhsa_private_segment_fixed_size 0
		.amdhsa_kernarg_size 512
		.amdhsa_user_sgpr_count 6
		.amdhsa_user_sgpr_private_segment_buffer 1
		.amdhsa_user_sgpr_dispatch_ptr 0
		.amdhsa_user_sgpr_queue_ptr 0
		.amdhsa_user_sgpr_kernarg_segment_ptr 1
		.amdhsa_user_sgpr_dispatch_id 0
		.amdhsa_user_sgpr_flat_scratch_init 0
		.amdhsa_user_sgpr_kernarg_preload_length 0
		.amdhsa_user_sgpr_kernarg_preload_offset 0
		.amdhsa_user_sgpr_private_segment_size 0
		.amdhsa_uses_dynamic_stack 0
		.amdhsa_system_sgpr_private_segment_wavefront_offset 0
		.amdhsa_system_sgpr_workgroup_id_x 1
		.amdhsa_system_sgpr_workgroup_id_y 0
		.amdhsa_system_sgpr_workgroup_id_z 0
		.amdhsa_system_sgpr_workgroup_info 0
		.amdhsa_system_vgpr_workitem_id 0
		.amdhsa_next_free_vgpr 34
		.amdhsa_next_free_sgpr 36
		.amdhsa_accum_offset 36
		.amdhsa_reserve_vcc 1
		.amdhsa_reserve_flat_scratch 0
		.amdhsa_float_round_mode_32 0
		.amdhsa_float_round_mode_16_64 0
		.amdhsa_float_denorm_mode_32 3
		.amdhsa_float_denorm_mode_16_64 3
		.amdhsa_dx10_clamp 1
		.amdhsa_ieee_mode 1
		.amdhsa_fp16_overflow 0
		.amdhsa_tg_split 0
		.amdhsa_exception_fp_ieee_invalid_op 0
		.amdhsa_exception_fp_denorm_src 0
		.amdhsa_exception_fp_ieee_div_zero 0
		.amdhsa_exception_fp_ieee_overflow 0
		.amdhsa_exception_fp_ieee_underflow 0
		.amdhsa_exception_fp_ieee_inexact 0
		.amdhsa_exception_int_div_zero 0
	.end_amdhsa_kernel
	.section	.text._ZN4RAJA28launch_new_reduce_global_fcnIZ4mainEUlNS_14LaunchContextTINS_3hip33LaunchContextIndicesAndDimsPolicyINS2_14IndicesAndDimsILb0ELb0ELb0ELb0EEEEEEEE0_NS_4expt15ForallParamPackIJEEEEEvT_T0_,"axG",@progbits,_ZN4RAJA28launch_new_reduce_global_fcnIZ4mainEUlNS_14LaunchContextTINS_3hip33LaunchContextIndicesAndDimsPolicyINS2_14IndicesAndDimsILb0ELb0ELb0ELb0EEEEEEEE0_NS_4expt15ForallParamPackIJEEEEEvT_T0_,comdat
.Lfunc_end3:
	.size	_ZN4RAJA28launch_new_reduce_global_fcnIZ4mainEUlNS_14LaunchContextTINS_3hip33LaunchContextIndicesAndDimsPolicyINS2_14IndicesAndDimsILb0ELb0ELb0ELb0EEEEEEEE0_NS_4expt15ForallParamPackIJEEEEEvT_T0_, .Lfunc_end3-_ZN4RAJA28launch_new_reduce_global_fcnIZ4mainEUlNS_14LaunchContextTINS_3hip33LaunchContextIndicesAndDimsPolicyINS2_14IndicesAndDimsILb0ELb0ELb0ELb0EEEEEEEE0_NS_4expt15ForallParamPackIJEEEEEvT_T0_
                                        ; -- End function
	.section	.AMDGPU.csdata,"",@progbits
; Kernel info:
; codeLenInByte = 652
; NumSgprs: 40
; NumVgprs: 34
; NumAgprs: 0
; TotalNumVgprs: 34
; ScratchSize: 0
; MemoryBound: 1
; FloatMode: 240
; IeeeMode: 1
; LDSByteSize: 0 bytes/workgroup (compile time only)
; SGPRBlocks: 4
; VGPRBlocks: 4
; NumSGPRsForWavesPerEU: 40
; NumVGPRsForWavesPerEU: 34
; AccumOffset: 36
; Occupancy: 8
; WaveLimiterHint : 0
; COMPUTE_PGM_RSRC2:SCRATCH_EN: 0
; COMPUTE_PGM_RSRC2:USER_SGPR: 6
; COMPUTE_PGM_RSRC2:TRAP_HANDLER: 0
; COMPUTE_PGM_RSRC2:TGID_X_EN: 1
; COMPUTE_PGM_RSRC2:TGID_Y_EN: 0
; COMPUTE_PGM_RSRC2:TGID_Z_EN: 0
; COMPUTE_PGM_RSRC2:TIDIG_COMP_CNT: 0
; COMPUTE_PGM_RSRC3_GFX90A:ACCUM_OFFSET: 8
; COMPUTE_PGM_RSRC3_GFX90A:TG_SPLIT: 0
	.section	.text._ZN4RAJA28launch_new_reduce_global_fcnIZ4mainEUlNS_14LaunchContextTINS_3hip33LaunchContextIndicesAndDimsPolicyINS2_14IndicesAndDimsILb0ELb0ELb0ELb0EEEEEEEE1_NS_4expt15ForallParamPackIJEEEEEvT_T0_,"axG",@progbits,_ZN4RAJA28launch_new_reduce_global_fcnIZ4mainEUlNS_14LaunchContextTINS_3hip33LaunchContextIndicesAndDimsPolicyINS2_14IndicesAndDimsILb0ELb0ELb0ELb0EEEEEEEE1_NS_4expt15ForallParamPackIJEEEEEvT_T0_,comdat
	.globl	_ZN4RAJA28launch_new_reduce_global_fcnIZ4mainEUlNS_14LaunchContextTINS_3hip33LaunchContextIndicesAndDimsPolicyINS2_14IndicesAndDimsILb0ELb0ELb0ELb0EEEEEEEE1_NS_4expt15ForallParamPackIJEEEEEvT_T0_ ; -- Begin function _ZN4RAJA28launch_new_reduce_global_fcnIZ4mainEUlNS_14LaunchContextTINS_3hip33LaunchContextIndicesAndDimsPolicyINS2_14IndicesAndDimsILb0ELb0ELb0ELb0EEEEEEEE1_NS_4expt15ForallParamPackIJEEEEEvT_T0_
	.p2align	8
	.type	_ZN4RAJA28launch_new_reduce_global_fcnIZ4mainEUlNS_14LaunchContextTINS_3hip33LaunchContextIndicesAndDimsPolicyINS2_14IndicesAndDimsILb0ELb0ELb0ELb0EEEEEEEE1_NS_4expt15ForallParamPackIJEEEEEvT_T0_,@function
_ZN4RAJA28launch_new_reduce_global_fcnIZ4mainEUlNS_14LaunchContextTINS_3hip33LaunchContextIndicesAndDimsPolicyINS2_14IndicesAndDimsILb0ELb0ELb0ELb0EEEEEEEE1_NS_4expt15ForallParamPackIJEEEEEvT_T0_: ; @_ZN4RAJA28launch_new_reduce_global_fcnIZ4mainEUlNS_14LaunchContextTINS_3hip33LaunchContextIndicesAndDimsPolicyINS2_14IndicesAndDimsILb0ELb0ELb0ELb0EEEEEEEE1_NS_4expt15ForallParamPackIJEEEEEvT_T0_
; %bb.0:
	s_load_dwordx8 s[8:15], s[4:5], 0x0
	s_mov_b32 s34, s7
	s_mov_b32 s7, 0
	s_mov_b32 s35, s7
	s_waitcnt lgkmcnt(0)
	s_sub_u32 s2, s10, s8
	s_subb_u32 s3, s11, s9
	s_lshl_b64 s[0:1], s[34:35], 4
	v_pk_mov_b32 v[2:3], s[2:3], s[2:3] op_sel:[0,1]
	v_cmp_ge_i64_e32 vcc, s[0:1], v[2:3]
	s_cbranch_vccnz .LBB4_10
; %bb.1:
	s_load_dwordx2 s[24:25], s[4:5], 0x20
	s_sub_u32 s2, s14, s12
	s_subb_u32 s3, s15, s13
	s_lshl_b64 s[36:37], s[6:7], 4
	v_pk_mov_b32 v[2:3], s[2:3], s[2:3] op_sel:[0,1]
	v_cmp_ge_i64_e32 vcc, s[36:37], v[2:3]
	s_cbranch_vccnz .LBB4_10
; %bb.2:
	s_add_u32 s26, s8, s0
	s_addc_u32 s27, s9, s1
	s_add_u32 s0, s26, 16
	s_addc_u32 s1, s27, 0
	v_pk_mov_b32 v[2:3], s[10:11], s[10:11] op_sel:[0,1]
	v_cmp_lt_i64_e32 vcc, s[0:1], v[2:3]
	s_and_b64 s[2:3], vcc, exec
	s_cselect_b32 s2, s1, s11
	s_cselect_b32 s3, s0, s10
	v_mov_b32_e32 v2, s3
	v_mov_b32_e32 v3, s2
	v_cmp_gt_i64_e32 vcc, s[26:27], v[2:3]
	s_and_b64 s[0:1], vcc, exec
	s_cselect_b32 s1, s26, s3
	s_cselect_b32 s0, s27, s2
	s_sub_u32 s10, s1, s26
	s_subb_u32 s11, s0, s27
	v_bfe_u32 v2, v0, 10, 10
	v_mov_b32_e32 v3, 0
	v_cmp_gt_i64_e32 vcc, s[10:11], v[2:3]
	s_and_saveexec_b64 s[0:1], vcc
	s_cbranch_execz .LBB4_10
; %bb.3:
	s_load_dwordx4 s[0:3], s[4:5], 0x38
	s_load_dwordx2 s[28:29], s[4:5], 0x68
	s_load_dwordx4 s[16:19], s[4:5], 0xc8
	s_load_dword s7, s[4:5], 0x10c
	s_load_dwordx4 s[20:23], s[4:5], 0x80
	s_load_dwordx2 s[30:31], s[4:5], 0xb0
	s_add_u32 s4, s12, s36
	s_addc_u32 s5, s13, s37
	s_waitcnt lgkmcnt(0)
	s_lshr_b32 s27, s7, 16
	s_add_u32 s36, s4, 16
	s_addc_u32 s37, s5, 0
	v_pk_mov_b32 v[4:5], s[14:15], s[14:15] op_sel:[0,1]
	v_cmp_lt_i64_e32 vcc, s[36:37], v[4:5]
	s_and_b64 s[38:39], vcc, exec
	s_cselect_b32 s9, s37, s15
	s_cselect_b32 s13, s36, s14
	v_mov_b32_e32 v4, s13
	v_mov_b32_e32 v5, s9
	v_cmp_gt_i64_e32 vcc, s[4:5], v[4:5]
	s_and_b64 s[14:15], vcc, exec
	s_cselect_b32 s13, s4, s13
	s_cselect_b32 s9, s5, s9
	s_sub_u32 s14, s13, s4
	s_subb_u32 s15, s9, s5
	s_and_b32 s5, s7, 0xffff
	s_mul_i32 s7, s21, 24
	s_mul_hi_u32 s9, s20, 24
	s_add_i32 s40, s9, s7
	s_lshl_b32 s7, s34, 4
	s_add_i32 s7, s8, s7
	v_add_u32_e32 v14, s7, v2
	s_mul_i32 s7, s3, 24
	s_mul_hi_u32 s13, s2, 24
	s_lshl_b64 s[34:35], s[0:1], 3
	s_lshl_b32 s0, s6, 4
	s_mov_b32 s33, 0
	v_and_b32_e32 v0, 0x3ff, v0
	v_mov_b32_e32 v1, v3
	s_mul_i32 s45, s20, 24
	s_lshl_b64 s[8:9], s[20:21], 5
	s_add_i32 s41, s13, s7
	s_mul_i32 s46, s2, 24
	s_add_i32 s0, s12, s0
	s_lshl_b64 s[6:7], s[2:3], 5
	s_lshl_b64 s[12:13], s[20:21], 4
	;; [unrolled: 1-line block ×5, first 2 shown]
	s_mov_b32 s44, s33
	v_cmp_gt_i64_e32 vcc, s[14:15], v[0:1]
	s_lshl_b64 s[22:23], s[22:23], 3
	v_add_u32_e32 v15, s0, v0
	s_mov_b64 s[38:39], 0
	v_mov_b32_e32 v16, s3
	v_mov_b32_e32 v17, s21
	v_mov_b32_e32 v18, s37
	v_mov_b32_e32 v19, s13
	v_mov_b32_e32 v20, s41
	v_mov_b32_e32 v21, s40
	v_mov_b32_e32 v22, s9
	v_mov_b32_e32 v23, s7
	s_branch .LBB4_5
.LBB4_4:                                ;   in Loop: Header=BB4_5 Depth=1
	s_or_b64 exec, exec, s[40:41]
	v_mov_b32_e32 v4, s33
	v_add_co_u32_e64 v2, s[0:1], s27, v2
	v_addc_co_u32_e64 v3, s[0:1], v3, v4, s[0:1]
	v_cmp_le_i64_e64 s[0:1], s[10:11], v[2:3]
	s_or_b64 s[38:39], s[0:1], s[38:39]
	v_add_u32_e32 v14, s27, v14
	s_andn2_b64 exec, exec, s[38:39]
	s_cbranch_execz .LBB4_10
.LBB4_5:                                ; =>This Loop Header: Depth=1
                                        ;     Child Loop BB4_7 Depth 2
                                        ;       Child Loop BB4_8 Depth 3
	s_and_saveexec_b64 s[40:41], vcc
	s_cbranch_execz .LBB4_4
; %bb.6:                                ;   in Loop: Header=BB4_5 Depth=1
	v_ashrrev_i32_e32 v6, 31, v14
	v_pk_mov_b32 v[4:5], s[28:29], s[28:29] op_sel:[0,1]
	v_mad_u64_u32 v[4:5], s[0:1], s22, v14, v[4:5]
	v_mul_lo_u32 v7, s23, v14
	v_mul_lo_u32 v6, s22, v6
	v_add3_u32 v5, v7, v5, v6
	v_add_u32_e32 v6, s26, v2
	v_ashrrev_i32_e32 v7, 31, v6
	v_mul_lo_u32 v8, v7, s18
	v_mul_lo_u32 v9, v6, s19
	v_mad_u64_u32 v[6:7], s[0:1], v6, s18, 0
	v_add3_u32 v7, v7, v9, v8
	v_lshlrev_b64 v[6:7], 3, v[6:7]
	v_mov_b32_e32 v8, s31
	v_add_co_u32_e64 v24, s[0:1], s30, v6
	v_addc_co_u32_e64 v25, s[0:1], v8, v7, s[0:1]
	s_mov_b64 s[42:43], 0
	v_mov_b32_e32 v26, v15
	v_pk_mov_b32 v[6:7], v[0:1], v[0:1] op_sel:[0,1]
.LBB4_7:                                ;   Parent Loop BB4_5 Depth=1
                                        ; =>  This Loop Header: Depth=2
                                        ;       Child Loop BB4_8 Depth 3
	v_ashrrev_i32_e32 v12, 31, v26
	v_pk_mov_b32 v[8:9], s[24:25], s[24:25] op_sel:[0,1]
	v_mad_u64_u32 v[10:11], s[0:1], s34, v26, v[8:9]
	v_mul_lo_u32 v8, s35, v26
	v_mul_lo_u32 v9, s34, v12
	v_add3_u32 v11, v8, v11, v9
	s_movk_i32 s3, 0x3e8
	v_pk_mov_b32 v[8:9], 0, 0
	v_pk_mov_b32 v[12:13], v[4:5], v[4:5] op_sel:[0,1]
.LBB4_8:                                ;   Parent Loop BB4_5 Depth=1
                                        ;     Parent Loop BB4_7 Depth=2
                                        ; =>    This Inner Loop Header: Depth=3
	v_add_co_u32_e64 v32, s[0:1], s2, v10
	v_addc_co_u32_e64 v33, s[0:1], v11, v16, s[0:1]
	v_add_co_u32_e64 v34, s[0:1], s20, v12
	v_addc_co_u32_e64 v35, s[0:1], v13, v17, s[0:1]
	v_add_co_u32_e64 v36, s[0:1], s36, v10
	v_addc_co_u32_e64 v37, s[0:1], v11, v18, s[0:1]
	v_add_co_u32_e64 v38, s[0:1], s12, v12
	v_addc_co_u32_e64 v39, s[0:1], v13, v19, s[0:1]
	global_load_dwordx2 v[28:29], v[10:11], off
	global_load_dwordx2 v[30:31], v[12:13], off
	v_add_co_u32_e64 v40, s[0:1], s46, v10
	v_addc_co_u32_e64 v41, s[0:1], v11, v20, s[0:1]
	v_add_co_u32_e64 v42, s[0:1], s45, v12
	v_addc_co_u32_e64 v43, s[0:1], v13, v21, s[0:1]
	global_load_dwordx2 v[44:45], v[32:33], off
	global_load_dwordx2 v[46:47], v[34:35], off
	;; [unrolled: 1-line block ×6, first 2 shown]
	v_add_co_u32_e64 v12, s[0:1], s8, v12
	v_addc_co_u32_e64 v13, s[0:1], v13, v22, s[0:1]
	v_add_co_u32_e64 v10, s[0:1], s6, v10
	s_add_i32 s3, s3, -4
	v_addc_co_u32_e64 v11, s[0:1], v11, v23, s[0:1]
	s_cmp_lg_u32 s3, 0
	s_waitcnt vmcnt(6)
	v_fmac_f64_e32 v[8:9], v[28:29], v[30:31]
	s_waitcnt vmcnt(4)
	v_fmac_f64_e32 v[8:9], v[44:45], v[46:47]
	;; [unrolled: 2-line block ×4, first 2 shown]
	s_cbranch_scc1 .LBB4_8
; %bb.9:                                ;   in Loop: Header=BB4_7 Depth=2
	v_add_u32_e32 v10, s4, v6
	v_ashrrev_i32_e32 v11, 31, v10
	v_mul_lo_u32 v12, v11, s16
	v_mul_lo_u32 v13, v10, s17
	v_mad_u64_u32 v[10:11], s[0:1], v10, s16, 0
	v_add3_u32 v11, v11, v13, v12
	v_lshlrev_b64 v[10:11], 3, v[10:11]
	v_add_co_u32_e64 v10, s[0:1], v24, v10
	v_addc_co_u32_e64 v11, s[0:1], v25, v11, s[0:1]
	global_store_dwordx2 v[10:11], v[8:9], off
	v_mov_b32_e32 v8, s44
	v_add_co_u32_e64 v6, s[0:1], s5, v6
	v_addc_co_u32_e64 v7, s[0:1], v7, v8, s[0:1]
	v_cmp_le_i64_e64 s[0:1], s[14:15], v[6:7]
	s_or_b64 s[42:43], s[0:1], s[42:43]
	v_add_u32_e32 v26, s5, v26
	s_andn2_b64 exec, exec, s[42:43]
	s_cbranch_execnz .LBB4_7
	s_branch .LBB4_4
.LBB4_10:
	s_endpgm
	.section	.rodata,"a",@progbits
	.p2align	6, 0x0
	.amdhsa_kernel _ZN4RAJA28launch_new_reduce_global_fcnIZ4mainEUlNS_14LaunchContextTINS_3hip33LaunchContextIndicesAndDimsPolicyINS2_14IndicesAndDimsILb0ELb0ELb0ELb0EEEEEEEE1_NS_4expt15ForallParamPackIJEEEEEvT_T0_
		.amdhsa_group_segment_fixed_size 0
		.amdhsa_private_segment_fixed_size 0
		.amdhsa_kernarg_size 512
		.amdhsa_user_sgpr_count 6
		.amdhsa_user_sgpr_private_segment_buffer 1
		.amdhsa_user_sgpr_dispatch_ptr 0
		.amdhsa_user_sgpr_queue_ptr 0
		.amdhsa_user_sgpr_kernarg_segment_ptr 1
		.amdhsa_user_sgpr_dispatch_id 0
		.amdhsa_user_sgpr_flat_scratch_init 0
		.amdhsa_user_sgpr_kernarg_preload_length 0
		.amdhsa_user_sgpr_kernarg_preload_offset 0
		.amdhsa_user_sgpr_private_segment_size 0
		.amdhsa_uses_dynamic_stack 0
		.amdhsa_system_sgpr_private_segment_wavefront_offset 0
		.amdhsa_system_sgpr_workgroup_id_x 1
		.amdhsa_system_sgpr_workgroup_id_y 1
		.amdhsa_system_sgpr_workgroup_id_z 0
		.amdhsa_system_sgpr_workgroup_info 0
		.amdhsa_system_vgpr_workitem_id 1
		.amdhsa_next_free_vgpr 56
		.amdhsa_next_free_sgpr 47
		.amdhsa_accum_offset 56
		.amdhsa_reserve_vcc 1
		.amdhsa_reserve_flat_scratch 0
		.amdhsa_float_round_mode_32 0
		.amdhsa_float_round_mode_16_64 0
		.amdhsa_float_denorm_mode_32 3
		.amdhsa_float_denorm_mode_16_64 3
		.amdhsa_dx10_clamp 1
		.amdhsa_ieee_mode 1
		.amdhsa_fp16_overflow 0
		.amdhsa_tg_split 0
		.amdhsa_exception_fp_ieee_invalid_op 0
		.amdhsa_exception_fp_denorm_src 0
		.amdhsa_exception_fp_ieee_div_zero 0
		.amdhsa_exception_fp_ieee_overflow 0
		.amdhsa_exception_fp_ieee_underflow 0
		.amdhsa_exception_fp_ieee_inexact 0
		.amdhsa_exception_int_div_zero 0
	.end_amdhsa_kernel
	.section	.text._ZN4RAJA28launch_new_reduce_global_fcnIZ4mainEUlNS_14LaunchContextTINS_3hip33LaunchContextIndicesAndDimsPolicyINS2_14IndicesAndDimsILb0ELb0ELb0ELb0EEEEEEEE1_NS_4expt15ForallParamPackIJEEEEEvT_T0_,"axG",@progbits,_ZN4RAJA28launch_new_reduce_global_fcnIZ4mainEUlNS_14LaunchContextTINS_3hip33LaunchContextIndicesAndDimsPolicyINS2_14IndicesAndDimsILb0ELb0ELb0ELb0EEEEEEEE1_NS_4expt15ForallParamPackIJEEEEEvT_T0_,comdat
.Lfunc_end4:
	.size	_ZN4RAJA28launch_new_reduce_global_fcnIZ4mainEUlNS_14LaunchContextTINS_3hip33LaunchContextIndicesAndDimsPolicyINS2_14IndicesAndDimsILb0ELb0ELb0ELb0EEEEEEEE1_NS_4expt15ForallParamPackIJEEEEEvT_T0_, .Lfunc_end4-_ZN4RAJA28launch_new_reduce_global_fcnIZ4mainEUlNS_14LaunchContextTINS_3hip33LaunchContextIndicesAndDimsPolicyINS2_14IndicesAndDimsILb0ELb0ELb0ELb0EEEEEEEE1_NS_4expt15ForallParamPackIJEEEEEvT_T0_
                                        ; -- End function
	.section	.AMDGPU.csdata,"",@progbits
; Kernel info:
; codeLenInByte = 1080
; NumSgprs: 51
; NumVgprs: 56
; NumAgprs: 0
; TotalNumVgprs: 56
; ScratchSize: 0
; MemoryBound: 1
; FloatMode: 240
; IeeeMode: 1
; LDSByteSize: 0 bytes/workgroup (compile time only)
; SGPRBlocks: 6
; VGPRBlocks: 6
; NumSGPRsForWavesPerEU: 51
; NumVGPRsForWavesPerEU: 56
; AccumOffset: 56
; Occupancy: 8
; WaveLimiterHint : 0
; COMPUTE_PGM_RSRC2:SCRATCH_EN: 0
; COMPUTE_PGM_RSRC2:USER_SGPR: 6
; COMPUTE_PGM_RSRC2:TRAP_HANDLER: 0
; COMPUTE_PGM_RSRC2:TGID_X_EN: 1
; COMPUTE_PGM_RSRC2:TGID_Y_EN: 1
; COMPUTE_PGM_RSRC2:TGID_Z_EN: 0
; COMPUTE_PGM_RSRC2:TIDIG_COMP_CNT: 1
; COMPUTE_PGM_RSRC3_GFX90A:ACCUM_OFFSET: 13
; COMPUTE_PGM_RSRC3_GFX90A:TG_SPLIT: 0
	.text
	.p2alignl 6, 3212836864
	.fill 256, 4, 3212836864
	.type	__hip_cuid_617968c1103ad97,@object ; @__hip_cuid_617968c1103ad97
	.section	.bss,"aw",@nobits
	.globl	__hip_cuid_617968c1103ad97
__hip_cuid_617968c1103ad97:
	.byte	0                               ; 0x0
	.size	__hip_cuid_617968c1103ad97, 1

	.ident	"AMD clang version 19.0.0git (https://github.com/RadeonOpenCompute/llvm-project roc-6.4.0 25133 c7fe45cf4b819c5991fe208aaa96edf142730f1d)"
	.section	".note.GNU-stack","",@progbits
	.addrsig
	.addrsig_sym __hip_cuid_617968c1103ad97
	.amdgpu_metadata
---
amdhsa.kernels:
  - .agpr_count:     0
    .args:
      - .offset:         0
        .size:           4
        .value_kind:     by_value
      - .address_space:  global
        .offset:         8
        .size:           8
        .value_kind:     global_buffer
      - .address_space:  global
        .offset:         16
        .size:           8
        .value_kind:     global_buffer
      - .address_space:  global
        .offset:         24
        .size:           8
        .value_kind:     global_buffer
      - .offset:         32
        .size:           4
        .value_kind:     hidden_block_count_x
      - .offset:         36
        .size:           4
        .value_kind:     hidden_block_count_y
      - .offset:         40
        .size:           4
        .value_kind:     hidden_block_count_z
      - .offset:         44
        .size:           2
        .value_kind:     hidden_group_size_x
      - .offset:         46
        .size:           2
        .value_kind:     hidden_group_size_y
      - .offset:         48
        .size:           2
        .value_kind:     hidden_group_size_z
      - .offset:         50
        .size:           2
        .value_kind:     hidden_remainder_x
      - .offset:         52
        .size:           2
        .value_kind:     hidden_remainder_y
      - .offset:         54
        .size:           2
        .value_kind:     hidden_remainder_z
      - .offset:         72
        .size:           8
        .value_kind:     hidden_global_offset_x
      - .offset:         80
        .size:           8
        .value_kind:     hidden_global_offset_y
      - .offset:         88
        .size:           8
        .value_kind:     hidden_global_offset_z
      - .offset:         96
        .size:           2
        .value_kind:     hidden_grid_dims
    .group_segment_fixed_size: 0
    .kernarg_segment_align: 8
    .kernarg_segment_size: 288
    .language:       OpenCL C
    .language_version:
      - 2
      - 0
    .max_flat_workgroup_size: 1024
    .name:           _Z13matMultKerneliPdS_S_
    .private_segment_fixed_size: 0
    .sgpr_count:     13
    .sgpr_spill_count: 0
    .symbol:         _Z13matMultKerneliPdS_S_.kd
    .uniform_work_group_size: 1
    .uses_dynamic_stack: false
    .vgpr_count:     14
    .vgpr_spill_count: 0
    .wavefront_size: 64
  - .agpr_count:     0
    .args:
      - .offset:         0
        .size:           4
        .value_kind:     by_value
      - .address_space:  global
        .offset:         8
        .size:           8
        .value_kind:     global_buffer
      - .address_space:  global
        .offset:         16
        .size:           8
        .value_kind:     global_buffer
      - .address_space:  global
        .offset:         24
        .size:           8
        .value_kind:     global_buffer
      - .offset:         32
        .size:           4
        .value_kind:     hidden_block_count_x
      - .offset:         36
        .size:           4
        .value_kind:     hidden_block_count_y
      - .offset:         40
        .size:           4
        .value_kind:     hidden_block_count_z
      - .offset:         44
        .size:           2
        .value_kind:     hidden_group_size_x
      - .offset:         46
        .size:           2
        .value_kind:     hidden_group_size_y
      - .offset:         48
        .size:           2
        .value_kind:     hidden_group_size_z
      - .offset:         50
        .size:           2
        .value_kind:     hidden_remainder_x
      - .offset:         52
        .size:           2
        .value_kind:     hidden_remainder_y
      - .offset:         54
        .size:           2
        .value_kind:     hidden_remainder_z
      - .offset:         72
        .size:           8
        .value_kind:     hidden_global_offset_x
      - .offset:         80
        .size:           8
        .value_kind:     hidden_global_offset_y
      - .offset:         88
        .size:           8
        .value_kind:     hidden_global_offset_z
      - .offset:         96
        .size:           2
        .value_kind:     hidden_grid_dims
    .group_segment_fixed_size: 6144
    .kernarg_segment_align: 8
    .kernarg_segment_size: 288
    .language:       OpenCL C
    .language_version:
      - 2
      - 0
    .max_flat_workgroup_size: 1024
    .name:           _Z19sharedMatMultKerneliPdS_S_
    .private_segment_fixed_size: 0
    .sgpr_count:     23
    .sgpr_spill_count: 0
    .symbol:         _Z19sharedMatMultKerneliPdS_S_.kd
    .uniform_work_group_size: 1
    .uses_dynamic_stack: false
    .vgpr_count:     42
    .vgpr_spill_count: 0
    .wavefront_size: 64
  - .agpr_count:     0
    .args:
      - .offset:         0
        .size:           248
        .value_kind:     by_value
      - .offset:         248
        .size:           1
        .value_kind:     by_value
      - .offset:         256
        .size:           4
        .value_kind:     hidden_block_count_x
      - .offset:         260
        .size:           4
        .value_kind:     hidden_block_count_y
      - .offset:         264
        .size:           4
        .value_kind:     hidden_block_count_z
      - .offset:         268
        .size:           2
        .value_kind:     hidden_group_size_x
      - .offset:         270
        .size:           2
        .value_kind:     hidden_group_size_y
      - .offset:         272
        .size:           2
        .value_kind:     hidden_group_size_z
      - .offset:         274
        .size:           2
        .value_kind:     hidden_remainder_x
      - .offset:         276
        .size:           2
        .value_kind:     hidden_remainder_y
      - .offset:         278
        .size:           2
        .value_kind:     hidden_remainder_z
      - .offset:         296
        .size:           8
        .value_kind:     hidden_global_offset_x
      - .offset:         304
        .size:           8
        .value_kind:     hidden_global_offset_y
      - .offset:         312
        .size:           8
        .value_kind:     hidden_global_offset_z
      - .offset:         320
        .size:           2
        .value_kind:     hidden_grid_dims
    .group_segment_fixed_size: 0
    .kernarg_segment_align: 8
    .kernarg_segment_size: 512
    .language:       OpenCL C
    .language_version:
      - 2
      - 0
    .max_flat_workgroup_size: 1024
    .name:           _ZN4RAJA28launch_new_reduce_global_fcnIZ4mainEUlNS_14LaunchContextTINS_3hip33LaunchContextIndicesAndDimsPolicyINS2_14IndicesAndDimsILb0ELb0ELb0ELb0EEEEEEEE_NS_4expt15ForallParamPackIJEEEEEvT_T0_
    .private_segment_fixed_size: 0
    .sgpr_count:     28
    .sgpr_spill_count: 0
    .symbol:         _ZN4RAJA28launch_new_reduce_global_fcnIZ4mainEUlNS_14LaunchContextTINS_3hip33LaunchContextIndicesAndDimsPolicyINS2_14IndicesAndDimsILb0ELb0ELb0ELb0EEEEEEEE_NS_4expt15ForallParamPackIJEEEEEvT_T0_.kd
    .uniform_work_group_size: 1
    .uses_dynamic_stack: false
    .vgpr_count:     46
    .vgpr_spill_count: 0
    .wavefront_size: 64
  - .agpr_count:     0
    .args:
      - .offset:         0
        .size:           248
        .value_kind:     by_value
      - .offset:         248
        .size:           1
        .value_kind:     by_value
      - .offset:         256
        .size:           4
        .value_kind:     hidden_block_count_x
      - .offset:         260
        .size:           4
        .value_kind:     hidden_block_count_y
      - .offset:         264
        .size:           4
        .value_kind:     hidden_block_count_z
      - .offset:         268
        .size:           2
        .value_kind:     hidden_group_size_x
      - .offset:         270
        .size:           2
        .value_kind:     hidden_group_size_y
      - .offset:         272
        .size:           2
        .value_kind:     hidden_group_size_z
      - .offset:         274
        .size:           2
        .value_kind:     hidden_remainder_x
      - .offset:         276
        .size:           2
        .value_kind:     hidden_remainder_y
      - .offset:         278
        .size:           2
        .value_kind:     hidden_remainder_z
      - .offset:         296
        .size:           8
        .value_kind:     hidden_global_offset_x
      - .offset:         304
        .size:           8
        .value_kind:     hidden_global_offset_y
      - .offset:         312
        .size:           8
        .value_kind:     hidden_global_offset_z
      - .offset:         320
        .size:           2
        .value_kind:     hidden_grid_dims
    .group_segment_fixed_size: 0
    .kernarg_segment_align: 8
    .kernarg_segment_size: 512
    .language:       OpenCL C
    .language_version:
      - 2
      - 0
    .max_flat_workgroup_size: 1024
    .name:           _ZN4RAJA28launch_new_reduce_global_fcnIZ4mainEUlNS_14LaunchContextTINS_3hip33LaunchContextIndicesAndDimsPolicyINS2_14IndicesAndDimsILb0ELb0ELb0ELb0EEEEEEEE0_NS_4expt15ForallParamPackIJEEEEEvT_T0_
    .private_segment_fixed_size: 0
    .sgpr_count:     40
    .sgpr_spill_count: 0
    .symbol:         _ZN4RAJA28launch_new_reduce_global_fcnIZ4mainEUlNS_14LaunchContextTINS_3hip33LaunchContextIndicesAndDimsPolicyINS2_14IndicesAndDimsILb0ELb0ELb0ELb0EEEEEEEE0_NS_4expt15ForallParamPackIJEEEEEvT_T0_.kd
    .uniform_work_group_size: 1
    .uses_dynamic_stack: false
    .vgpr_count:     34
    .vgpr_spill_count: 0
    .wavefront_size: 64
  - .agpr_count:     0
    .args:
      - .offset:         0
        .size:           248
        .value_kind:     by_value
      - .offset:         248
        .size:           1
        .value_kind:     by_value
      - .offset:         256
        .size:           4
        .value_kind:     hidden_block_count_x
      - .offset:         260
        .size:           4
        .value_kind:     hidden_block_count_y
      - .offset:         264
        .size:           4
        .value_kind:     hidden_block_count_z
      - .offset:         268
        .size:           2
        .value_kind:     hidden_group_size_x
      - .offset:         270
        .size:           2
        .value_kind:     hidden_group_size_y
      - .offset:         272
        .size:           2
        .value_kind:     hidden_group_size_z
      - .offset:         274
        .size:           2
        .value_kind:     hidden_remainder_x
      - .offset:         276
        .size:           2
        .value_kind:     hidden_remainder_y
      - .offset:         278
        .size:           2
        .value_kind:     hidden_remainder_z
      - .offset:         296
        .size:           8
        .value_kind:     hidden_global_offset_x
      - .offset:         304
        .size:           8
        .value_kind:     hidden_global_offset_y
      - .offset:         312
        .size:           8
        .value_kind:     hidden_global_offset_z
      - .offset:         320
        .size:           2
        .value_kind:     hidden_grid_dims
    .group_segment_fixed_size: 0
    .kernarg_segment_align: 8
    .kernarg_segment_size: 512
    .language:       OpenCL C
    .language_version:
      - 2
      - 0
    .max_flat_workgroup_size: 1024
    .name:           _ZN4RAJA28launch_new_reduce_global_fcnIZ4mainEUlNS_14LaunchContextTINS_3hip33LaunchContextIndicesAndDimsPolicyINS2_14IndicesAndDimsILb0ELb0ELb0ELb0EEEEEEEE1_NS_4expt15ForallParamPackIJEEEEEvT_T0_
    .private_segment_fixed_size: 0
    .sgpr_count:     51
    .sgpr_spill_count: 0
    .symbol:         _ZN4RAJA28launch_new_reduce_global_fcnIZ4mainEUlNS_14LaunchContextTINS_3hip33LaunchContextIndicesAndDimsPolicyINS2_14IndicesAndDimsILb0ELb0ELb0ELb0EEEEEEEE1_NS_4expt15ForallParamPackIJEEEEEvT_T0_.kd
    .uniform_work_group_size: 1
    .uses_dynamic_stack: false
    .vgpr_count:     56
    .vgpr_spill_count: 0
    .wavefront_size: 64
amdhsa.target:   amdgcn-amd-amdhsa--gfx90a
amdhsa.version:
  - 1
  - 2
...

	.end_amdgpu_metadata
